;; amdgpu-corpus repo=ROCm/rocFFT kind=compiled arch=gfx1030 opt=O3
	.text
	.amdgcn_target "amdgcn-amd-amdhsa--gfx1030"
	.amdhsa_code_object_version 6
	.protected	fft_rtc_back_len1620_factors_10_3_3_6_3_wgs_162_tpt_162_halfLds_dp_op_CI_CI_unitstride_sbrr_dirReg ; -- Begin function fft_rtc_back_len1620_factors_10_3_3_6_3_wgs_162_tpt_162_halfLds_dp_op_CI_CI_unitstride_sbrr_dirReg
	.globl	fft_rtc_back_len1620_factors_10_3_3_6_3_wgs_162_tpt_162_halfLds_dp_op_CI_CI_unitstride_sbrr_dirReg
	.p2align	8
	.type	fft_rtc_back_len1620_factors_10_3_3_6_3_wgs_162_tpt_162_halfLds_dp_op_CI_CI_unitstride_sbrr_dirReg,@function
fft_rtc_back_len1620_factors_10_3_3_6_3_wgs_162_tpt_162_halfLds_dp_op_CI_CI_unitstride_sbrr_dirReg: ; @fft_rtc_back_len1620_factors_10_3_3_6_3_wgs_162_tpt_162_halfLds_dp_op_CI_CI_unitstride_sbrr_dirReg
; %bb.0:
	s_clause 0x2
	s_load_dwordx4 s[8:11], s[4:5], 0x0
	s_load_dwordx4 s[12:15], s[4:5], 0x58
	;; [unrolled: 1-line block ×3, first 2 shown]
	v_mul_u32_u24_e32 v2, 0x195, v0
	v_mov_b32_e32 v1, 0
	v_mov_b32_e32 v4, 0
	;; [unrolled: 1-line block ×3, first 2 shown]
	v_add_nc_u32_sdwa v6, s6, v2 dst_sel:DWORD dst_unused:UNUSED_PAD src0_sel:DWORD src1_sel:WORD_1
	v_mov_b32_e32 v7, v1
	s_waitcnt lgkmcnt(0)
	v_cmp_lt_u64_e64 s0, s[10:11], 2
	s_and_b32 vcc_lo, exec_lo, s0
	s_cbranch_vccnz .LBB0_8
; %bb.1:
	s_load_dwordx2 s[0:1], s[4:5], 0x10
	v_mov_b32_e32 v4, 0
	v_mov_b32_e32 v5, 0
	s_add_u32 s2, s18, 8
	s_addc_u32 s3, s19, 0
	s_add_u32 s6, s16, 8
	s_addc_u32 s7, s17, 0
	v_mov_b32_e32 v61, v5
	v_mov_b32_e32 v60, v4
	s_mov_b64 s[22:23], 1
	s_waitcnt lgkmcnt(0)
	s_add_u32 s20, s0, 8
	s_addc_u32 s21, s1, 0
.LBB0_2:                                ; =>This Inner Loop Header: Depth=1
	s_load_dwordx2 s[24:25], s[20:21], 0x0
                                        ; implicit-def: $vgpr62_vgpr63
	s_mov_b32 s0, exec_lo
	s_waitcnt lgkmcnt(0)
	v_or_b32_e32 v2, s25, v7
	v_cmpx_ne_u64_e32 0, v[1:2]
	s_xor_b32 s1, exec_lo, s0
	s_cbranch_execz .LBB0_4
; %bb.3:                                ;   in Loop: Header=BB0_2 Depth=1
	v_cvt_f32_u32_e32 v2, s24
	v_cvt_f32_u32_e32 v3, s25
	s_sub_u32 s0, 0, s24
	s_subb_u32 s26, 0, s25
	v_fmac_f32_e32 v2, 0x4f800000, v3
	v_rcp_f32_e32 v2, v2
	v_mul_f32_e32 v2, 0x5f7ffffc, v2
	v_mul_f32_e32 v3, 0x2f800000, v2
	v_trunc_f32_e32 v3, v3
	v_fmac_f32_e32 v2, 0xcf800000, v3
	v_cvt_u32_f32_e32 v3, v3
	v_cvt_u32_f32_e32 v2, v2
	v_mul_lo_u32 v8, s0, v3
	v_mul_hi_u32 v9, s0, v2
	v_mul_lo_u32 v10, s26, v2
	v_add_nc_u32_e32 v8, v9, v8
	v_mul_lo_u32 v9, s0, v2
	v_add_nc_u32_e32 v8, v8, v10
	v_mul_hi_u32 v10, v2, v9
	v_mul_lo_u32 v11, v2, v8
	v_mul_hi_u32 v12, v2, v8
	v_mul_hi_u32 v13, v3, v9
	v_mul_lo_u32 v9, v3, v9
	v_mul_hi_u32 v14, v3, v8
	v_mul_lo_u32 v8, v3, v8
	v_add_co_u32 v10, vcc_lo, v10, v11
	v_add_co_ci_u32_e32 v11, vcc_lo, 0, v12, vcc_lo
	v_add_co_u32 v9, vcc_lo, v10, v9
	v_add_co_ci_u32_e32 v9, vcc_lo, v11, v13, vcc_lo
	v_add_co_ci_u32_e32 v10, vcc_lo, 0, v14, vcc_lo
	v_add_co_u32 v8, vcc_lo, v9, v8
	v_add_co_ci_u32_e32 v9, vcc_lo, 0, v10, vcc_lo
	v_add_co_u32 v2, vcc_lo, v2, v8
	v_add_co_ci_u32_e32 v3, vcc_lo, v3, v9, vcc_lo
	v_mul_hi_u32 v8, s0, v2
	v_mul_lo_u32 v10, s26, v2
	v_mul_lo_u32 v9, s0, v3
	v_add_nc_u32_e32 v8, v8, v9
	v_mul_lo_u32 v9, s0, v2
	v_add_nc_u32_e32 v8, v8, v10
	v_mul_hi_u32 v10, v2, v9
	v_mul_lo_u32 v11, v2, v8
	v_mul_hi_u32 v12, v2, v8
	v_mul_hi_u32 v13, v3, v9
	v_mul_lo_u32 v9, v3, v9
	v_mul_hi_u32 v14, v3, v8
	v_mul_lo_u32 v8, v3, v8
	v_add_co_u32 v10, vcc_lo, v10, v11
	v_add_co_ci_u32_e32 v11, vcc_lo, 0, v12, vcc_lo
	v_add_co_u32 v9, vcc_lo, v10, v9
	v_add_co_ci_u32_e32 v9, vcc_lo, v11, v13, vcc_lo
	v_add_co_ci_u32_e32 v10, vcc_lo, 0, v14, vcc_lo
	v_add_co_u32 v8, vcc_lo, v9, v8
	v_add_co_ci_u32_e32 v9, vcc_lo, 0, v10, vcc_lo
	v_add_co_u32 v8, vcc_lo, v2, v8
	v_add_co_ci_u32_e32 v10, vcc_lo, v3, v9, vcc_lo
	v_mul_hi_u32 v12, v6, v8
	v_mad_u64_u32 v[8:9], null, v7, v8, 0
	v_mad_u64_u32 v[2:3], null, v6, v10, 0
	;; [unrolled: 1-line block ×3, first 2 shown]
	v_add_co_u32 v2, vcc_lo, v12, v2
	v_add_co_ci_u32_e32 v3, vcc_lo, 0, v3, vcc_lo
	v_add_co_u32 v2, vcc_lo, v2, v8
	v_add_co_ci_u32_e32 v2, vcc_lo, v3, v9, vcc_lo
	v_add_co_ci_u32_e32 v3, vcc_lo, 0, v11, vcc_lo
	v_add_co_u32 v8, vcc_lo, v2, v10
	v_add_co_ci_u32_e32 v9, vcc_lo, 0, v3, vcc_lo
	v_mul_lo_u32 v10, s25, v8
	v_mad_u64_u32 v[2:3], null, s24, v8, 0
	v_mul_lo_u32 v11, s24, v9
	v_sub_co_u32 v2, vcc_lo, v6, v2
	v_add3_u32 v3, v3, v11, v10
	v_sub_nc_u32_e32 v10, v7, v3
	v_subrev_co_ci_u32_e64 v10, s0, s25, v10, vcc_lo
	v_add_co_u32 v11, s0, v8, 2
	v_add_co_ci_u32_e64 v12, s0, 0, v9, s0
	v_sub_co_u32 v13, s0, v2, s24
	v_sub_co_ci_u32_e32 v3, vcc_lo, v7, v3, vcc_lo
	v_subrev_co_ci_u32_e64 v10, s0, 0, v10, s0
	v_cmp_le_u32_e32 vcc_lo, s24, v13
	v_cmp_eq_u32_e64 s0, s25, v3
	v_cndmask_b32_e64 v13, 0, -1, vcc_lo
	v_cmp_le_u32_e32 vcc_lo, s25, v10
	v_cndmask_b32_e64 v14, 0, -1, vcc_lo
	v_cmp_le_u32_e32 vcc_lo, s24, v2
	;; [unrolled: 2-line block ×3, first 2 shown]
	v_cndmask_b32_e64 v15, 0, -1, vcc_lo
	v_cmp_eq_u32_e32 vcc_lo, s25, v10
	v_cndmask_b32_e64 v2, v15, v2, s0
	v_cndmask_b32_e32 v10, v14, v13, vcc_lo
	v_add_co_u32 v13, vcc_lo, v8, 1
	v_add_co_ci_u32_e32 v14, vcc_lo, 0, v9, vcc_lo
	v_cmp_ne_u32_e32 vcc_lo, 0, v10
	v_cndmask_b32_e32 v3, v14, v12, vcc_lo
	v_cndmask_b32_e32 v10, v13, v11, vcc_lo
	v_cmp_ne_u32_e32 vcc_lo, 0, v2
	v_cndmask_b32_e32 v63, v9, v3, vcc_lo
	v_cndmask_b32_e32 v62, v8, v10, vcc_lo
.LBB0_4:                                ;   in Loop: Header=BB0_2 Depth=1
	s_andn2_saveexec_b32 s0, s1
	s_cbranch_execz .LBB0_6
; %bb.5:                                ;   in Loop: Header=BB0_2 Depth=1
	v_cvt_f32_u32_e32 v2, s24
	s_sub_i32 s1, 0, s24
	v_mov_b32_e32 v63, v1
	v_rcp_iflag_f32_e32 v2, v2
	v_mul_f32_e32 v2, 0x4f7ffffe, v2
	v_cvt_u32_f32_e32 v2, v2
	v_mul_lo_u32 v3, s1, v2
	v_mul_hi_u32 v3, v2, v3
	v_add_nc_u32_e32 v2, v2, v3
	v_mul_hi_u32 v2, v6, v2
	v_mul_lo_u32 v3, v2, s24
	v_add_nc_u32_e32 v8, 1, v2
	v_sub_nc_u32_e32 v3, v6, v3
	v_subrev_nc_u32_e32 v9, s24, v3
	v_cmp_le_u32_e32 vcc_lo, s24, v3
	v_cndmask_b32_e32 v3, v3, v9, vcc_lo
	v_cndmask_b32_e32 v2, v2, v8, vcc_lo
	v_cmp_le_u32_e32 vcc_lo, s24, v3
	v_add_nc_u32_e32 v8, 1, v2
	v_cndmask_b32_e32 v62, v2, v8, vcc_lo
.LBB0_6:                                ;   in Loop: Header=BB0_2 Depth=1
	s_or_b32 exec_lo, exec_lo, s0
	v_mul_lo_u32 v8, v63, s24
	v_mul_lo_u32 v9, v62, s25
	s_load_dwordx2 s[0:1], s[6:7], 0x0
	v_mad_u64_u32 v[2:3], null, v62, s24, 0
	s_load_dwordx2 s[24:25], s[2:3], 0x0
	s_add_u32 s22, s22, 1
	s_addc_u32 s23, s23, 0
	s_add_u32 s2, s2, 8
	s_addc_u32 s3, s3, 0
	s_add_u32 s6, s6, 8
	v_add3_u32 v3, v3, v9, v8
	v_sub_co_u32 v2, vcc_lo, v6, v2
	s_addc_u32 s7, s7, 0
	s_add_u32 s20, s20, 8
	v_sub_co_ci_u32_e32 v3, vcc_lo, v7, v3, vcc_lo
	s_addc_u32 s21, s21, 0
	s_waitcnt lgkmcnt(0)
	v_mul_lo_u32 v6, s0, v3
	v_mul_lo_u32 v7, s1, v2
	v_mad_u64_u32 v[4:5], null, s0, v2, v[4:5]
	v_mul_lo_u32 v3, s24, v3
	v_mul_lo_u32 v8, s25, v2
	v_mad_u64_u32 v[60:61], null, s24, v2, v[60:61]
	v_cmp_ge_u64_e64 s0, s[22:23], s[10:11]
	v_add3_u32 v5, v7, v5, v6
	v_add3_u32 v61, v8, v61, v3
	s_and_b32 vcc_lo, exec_lo, s0
	s_cbranch_vccnz .LBB0_9
; %bb.7:                                ;   in Loop: Header=BB0_2 Depth=1
	v_mov_b32_e32 v6, v62
	v_mov_b32_e32 v7, v63
	s_branch .LBB0_2
.LBB0_8:
	v_mov_b32_e32 v61, v5
	v_mov_b32_e32 v63, v7
	;; [unrolled: 1-line block ×4, first 2 shown]
.LBB0_9:
	s_load_dwordx2 s[0:1], s[4:5], 0x28
	v_mul_hi_u32 v1, 0x1948b10, v0
	s_lshl_b64 s[4:5], s[10:11], 3
                                        ; implicit-def: $vgpr76
	s_add_u32 s2, s18, s4
	s_addc_u32 s3, s19, s5
	s_waitcnt lgkmcnt(0)
	v_cmp_gt_u64_e32 vcc_lo, s[0:1], v[62:63]
	v_cmp_le_u64_e64 s0, s[0:1], v[62:63]
	s_and_saveexec_b32 s1, s0
	s_xor_b32 s0, exec_lo, s1
; %bb.10:
	v_mul_u32_u24_e32 v1, 0xa2, v1
                                        ; implicit-def: $vgpr4_vgpr5
	v_sub_nc_u32_e32 v76, v0, v1
                                        ; implicit-def: $vgpr1
                                        ; implicit-def: $vgpr0
; %bb.11:
	s_or_saveexec_b32 s1, s0
                                        ; implicit-def: $vgpr6_vgpr7
                                        ; implicit-def: $vgpr2_vgpr3
                                        ; implicit-def: $vgpr10_vgpr11
                                        ; implicit-def: $vgpr14_vgpr15
                                        ; implicit-def: $vgpr34_vgpr35
                                        ; implicit-def: $vgpr38_vgpr39
                                        ; implicit-def: $vgpr30_vgpr31
                                        ; implicit-def: $vgpr18_vgpr19
                                        ; implicit-def: $vgpr26_vgpr27
                                        ; implicit-def: $vgpr22_vgpr23
	s_xor_b32 exec_lo, exec_lo, s1
	s_cbranch_execz .LBB0_13
; %bb.12:
	s_add_u32 s4, s16, s4
	s_addc_u32 s5, s17, s5
	s_load_dwordx2 s[4:5], s[4:5], 0x0
	s_waitcnt lgkmcnt(0)
	v_mul_lo_u32 v6, s5, v62
	v_mul_lo_u32 v7, s4, v63
	v_mad_u64_u32 v[2:3], null, s4, v62, 0
	v_add3_u32 v3, v3, v7, v6
	v_mul_u32_u24_e32 v6, 0xa2, v1
	v_lshlrev_b64 v[1:2], 4, v[2:3]
	v_lshlrev_b64 v[3:4], 4, v[4:5]
	v_sub_nc_u32_e32 v76, v0, v6
	v_add_co_u32 v0, s0, s12, v1
	v_add_co_ci_u32_e64 v1, s0, s13, v2, s0
	v_lshlrev_b32_e32 v2, 4, v76
	v_add_co_u32 v0, s0, v0, v3
	v_add_co_ci_u32_e64 v1, s0, v1, v4, s0
	v_add_co_u32 v0, s0, v0, v2
	v_add_co_ci_u32_e64 v1, s0, 0, v1, s0
	;; [unrolled: 2-line block ×10, first 2 shown]
	s_clause 0x3
	global_load_dwordx4 v[20:23], v[0:1], off
	global_load_dwordx4 v[24:27], v[2:3], off offset:544
	global_load_dwordx4 v[16:19], v[4:5], off offset:1088
	;; [unrolled: 1-line block ×3, first 2 shown]
	v_add_co_u32 v4, s0, 0x5800, v0
	v_add_co_ci_u32_e64 v5, s0, 0, v1, s0
	s_clause 0x5
	global_load_dwordx4 v[36:39], v[8:9], off offset:128
	global_load_dwordx4 v[32:35], v[10:11], off offset:672
	global_load_dwordx4 v[12:15], v[12:13], off offset:1216
	global_load_dwordx4 v[8:11], v[40:41], off offset:1760
	global_load_dwordx4 v[0:3], v[42:43], off offset:256
	global_load_dwordx4 v[4:7], v[4:5], off offset:800
.LBB0_13:
	s_or_b32 exec_lo, exec_lo, s1
	s_waitcnt vmcnt(2)
	v_add_f64 v[40:41], v[10:11], v[34:35]
	s_waitcnt vmcnt(0)
	v_add_f64 v[42:43], v[6:7], v[30:31]
	v_add_f64 v[44:45], v[8:9], v[32:33]
	v_add_f64 v[48:49], v[28:29], -v[4:5]
	v_add_f64 v[46:47], v[4:5], v[28:29]
	v_add_f64 v[50:51], v[32:33], -v[8:9]
	s_mov_b32 s16, 0x134454ff
	s_mov_b32 s17, 0xbfee6f0e
	s_mov_b32 s7, 0x3fee6f0e
	s_mov_b32 s6, s16
	v_add_f64 v[54:55], v[30:31], -v[34:35]
	v_add_f64 v[56:57], v[6:7], -v[10:11]
	;; [unrolled: 1-line block ×4, first 2 shown]
	v_add_f64 v[66:67], v[12:13], v[36:37]
	v_add_f64 v[70:71], v[30:31], -v[6:7]
	v_add_f64 v[68:69], v[0:1], v[16:17]
	v_add_f64 v[72:73], v[34:35], -v[10:11]
	s_mov_b32 s12, 0x4755a5e
	s_mov_b32 s13, 0xbfe2cf23
	;; [unrolled: 1-line block ×4, first 2 shown]
	v_fma_f64 v[40:41], v[40:41], -0.5, v[26:27]
	v_fma_f64 v[42:43], v[42:43], -0.5, v[26:27]
	;; [unrolled: 1-line block ×3, first 2 shown]
	v_add_f64 v[52:53], v[28:29], -v[32:33]
	v_fma_f64 v[46:47], v[46:47], -0.5, v[24:25]
	v_add_f64 v[79:80], v[4:5], -v[8:9]
	v_add_f64 v[81:82], v[32:33], -v[28:29]
	;; [unrolled: 1-line block ×4, first 2 shown]
	v_add_f64 v[89:90], v[16:17], v[20:21]
	v_add_f64 v[24:25], v[28:29], v[24:25]
	;; [unrolled: 1-line block ×3, first 2 shown]
	v_add_f64 v[87:88], v[38:39], -v[14:15]
	v_add_f64 v[56:57], v[64:65], v[58:59]
	v_fma_f64 v[28:29], v[66:67], -0.5, v[20:21]
	s_mov_b32 s18, 0x372fe950
	v_fma_f64 v[20:21], v[68:69], -0.5, v[20:21]
	s_mov_b32 s19, 0x3fd3c6ef
	s_mov_b32 s20, 0x9b97f4a8
	;; [unrolled: 1-line block ×5, first 2 shown]
	v_fma_f64 v[74:75], v[48:49], s[6:7], v[40:41]
	v_fma_f64 v[77:78], v[50:51], s[16:17], v[42:43]
	;; [unrolled: 1-line block ×8, first 2 shown]
	v_add_f64 v[52:53], v[79:80], v[52:53]
	v_add_f64 v[79:80], v[83:84], v[81:82]
	;; [unrolled: 1-line block ×4, first 2 shown]
	s_mov_b32 s5, 0xbfe9e377
	s_mov_b32 s4, s20
	v_fma_f64 v[83:84], v[85:86], s[16:17], v[28:29]
	v_fma_f64 v[28:29], v[85:86], s[6:7], v[28:29]
	;; [unrolled: 1-line block ×8, first 2 shown]
	v_add_f64 v[48:49], v[16:17], -v[36:37]
	v_add_f64 v[50:51], v[0:1], -v[12:13]
	v_fma_f64 v[58:59], v[72:73], s[12:13], v[58:59]
	v_fma_f64 v[44:45], v[72:73], s[10:11], v[44:45]
	v_add_f64 v[74:75], v[36:37], -v[16:17]
	v_add_f64 v[77:78], v[12:13], -v[0:1]
	v_fma_f64 v[72:73], v[70:71], s[12:13], v[66:67]
	v_fma_f64 v[46:47], v[70:71], s[10:11], v[46:47]
	v_add_f64 v[24:25], v[8:9], v[24:25]
	v_fma_f64 v[28:29], v[87:88], s[10:11], v[28:29]
	v_fma_f64 v[20:21], v[85:86], s[10:11], v[20:21]
	;; [unrolled: 1-line block ×7, first 2 shown]
	v_add_f64 v[40:41], v[50:51], v[48:49]
	v_add_f64 v[48:49], v[12:13], v[81:82]
	v_fma_f64 v[50:51], v[87:88], s[12:13], v[83:84]
	v_fma_f64 v[70:71], v[52:53], s[18:19], v[58:59]
	;; [unrolled: 1-line block ×3, first 2 shown]
	v_add_f64 v[42:43], v[77:78], v[74:75]
	v_fma_f64 v[74:75], v[79:80], s[18:19], v[72:73]
	v_fma_f64 v[72:73], v[79:80], s[18:19], v[46:47]
	v_add_f64 v[4:5], v[4:5], v[24:25]
	v_mul_u32_u24_e32 v81, 10, v76
	v_mul_f64 v[44:45], v[32:33], s[12:13]
	v_mul_f64 v[52:53], v[64:65], s[16:17]
	;; [unrolled: 1-line block ×4, first 2 shown]
	v_fma_f64 v[28:29], v[40:41], s[18:19], v[28:29]
	v_add_f64 v[48:49], v[0:1], v[48:49]
	v_fma_f64 v[24:25], v[40:41], s[18:19], v[50:51]
	v_fma_f64 v[58:59], v[42:43], s[18:19], v[54:55]
	;; [unrolled: 1-line block ×7, first 2 shown]
	s_load_dwordx2 s[4:5], s[2:3], 0x0
	v_cmp_gt_u32_e64 s0, 54, v76
	v_add_f64 v[44:45], v[4:5], v[48:49]
	v_add_f64 v[50:51], v[48:49], -v[4:5]
	v_lshl_add_u32 v4, v81, 3, 0
	v_add_f64 v[46:47], v[24:25], v[40:41]
	v_add_f64 v[54:55], v[58:59], -v[77:78]
	v_add_f64 v[56:57], v[58:59], v[77:78]
	v_add_f64 v[58:59], v[20:21], v[42:43]
	v_add_f64 v[48:49], v[28:29], v[79:80]
	v_add_f64 v[52:53], v[24:25], -v[40:41]
	v_add_f64 v[40:41], v[20:21], -v[42:43]
	;; [unrolled: 1-line block ×3, first 2 shown]
	v_mad_i32_i24 v78, 0xffffffb8, v76, v4
                                        ; implicit-def: $vgpr24_vgpr25
                                        ; implicit-def: $vgpr28_vgpr29
	ds_write_b128 v4, v[44:47]
	ds_write_b128 v4, v[56:59] offset:16
	ds_write_b128 v4, v[48:51] offset:32
	;; [unrolled: 1-line block ×4, first 2 shown]
	v_add_nc_u32_e32 v5, 0xa00, v78
	v_add_nc_u32_e32 v79, 0x2000, v78
	;; [unrolled: 1-line block ×3, first 2 shown]
	s_waitcnt lgkmcnt(0)
	s_barrier
	buffer_gl0_inv
	ds_read_b64 v[20:21], v78 offset:11232
	ds_read2_b64 v[48:51], v78 offset1:162
	ds_read2_b64 v[44:47], v5 offset0:4 offset1:220
	ds_read2_b64 v[56:59], v79 offset0:56 offset1:218
	;; [unrolled: 1-line block ×3, first 2 shown]
	s_and_saveexec_b32 s1, s0
	s_cbranch_execz .LBB0_15
; %bb.14:
	ds_read_b64 v[42:43], v78 offset:3888
	ds_read_b64 v[28:29], v78 offset:8208
	;; [unrolled: 1-line block ×3, first 2 shown]
.LBB0_15:
	s_or_b32 exec_lo, exec_lo, s1
	v_add_f64 v[40:41], v[14:15], v[38:39]
	v_add_f64 v[80:81], v[2:3], v[18:19]
	;; [unrolled: 1-line block ×3, first 2 shown]
	v_add_f64 v[0:1], v[16:17], -v[0:1]
	v_add_f64 v[16:17], v[30:31], v[26:27]
	v_add_f64 v[12:13], v[36:37], -v[12:13]
	v_add_f64 v[30:31], v[18:19], -v[38:39]
	;; [unrolled: 1-line block ×4, first 2 shown]
	v_mul_f64 v[70:71], v[70:71], s[10:11]
	v_mul_f64 v[74:75], v[74:75], s[6:7]
	;; [unrolled: 1-line block ×4, first 2 shown]
	s_waitcnt lgkmcnt(0)
	s_barrier
	buffer_gl0_inv
	v_fma_f64 v[26:27], v[40:41], -0.5, v[22:23]
	v_fma_f64 v[22:23], v[80:81], -0.5, v[22:23]
	v_add_f64 v[38:39], v[38:39], v[82:83]
	v_add_f64 v[16:17], v[34:35], v[16:17]
	v_add_f64 v[34:35], v[14:15], -v[2:3]
	v_add_f64 v[30:31], v[36:37], v[30:31]
	v_fma_f64 v[36:37], v[72:73], s[6:7], -v[68:69]
	v_fma_f64 v[40:41], v[0:1], s[6:7], v[26:27]
	v_fma_f64 v[80:81], v[12:13], s[16:17], v[22:23]
	;; [unrolled: 1-line block ×4, first 2 shown]
	v_add_f64 v[14:15], v[14:15], v[38:39]
	v_add_f64 v[10:11], v[10:11], v[16:17]
	;; [unrolled: 1-line block ×3, first 2 shown]
	v_fma_f64 v[38:39], v[8:9], s[10:11], -v[66:67]
	v_fma_f64 v[18:19], v[12:13], s[10:11], v[40:41]
	v_fma_f64 v[34:35], v[0:1], s[10:11], v[80:81]
	;; [unrolled: 1-line block ×5, first 2 shown]
	v_add_f64 v[2:3], v[2:3], v[14:15]
	v_add_f64 v[10:11], v[6:7], v[10:11]
	v_fma_f64 v[26:27], v[64:65], s[18:19], v[74:75]
	v_fma_f64 v[18:19], v[30:31], s[18:19], v[18:19]
	;; [unrolled: 1-line block ×5, first 2 shown]
	v_add_f64 v[6:7], v[10:11], v[2:3]
	v_add_f64 v[12:13], v[2:3], -v[10:11]
	v_add_f64 v[8:9], v[18:19], v[22:23]
	v_add_f64 v[14:15], v[32:33], v[26:27]
	;; [unrolled: 1-line block ×4, first 2 shown]
	v_add_f64 v[30:31], v[18:19], -v[22:23]
	v_add_f64 v[32:33], v[32:33], -v[26:27]
	;; [unrolled: 1-line block ×4, first 2 shown]
                                        ; implicit-def: $vgpr22_vgpr23
	ds_write_b128 v4, v[6:9]
	ds_write_b128 v4, v[14:17] offset:16
	ds_write_b128 v4, v[10:13] offset:32
	;; [unrolled: 1-line block ×4, first 2 shown]
	s_waitcnt lgkmcnt(0)
	s_barrier
	buffer_gl0_inv
	ds_read2_b64 v[16:19], v78 offset1:162
	ds_read2_b64 v[4:7], v5 offset0:4 offset1:220
	ds_read2_b64 v[12:15], v79 offset0:56 offset1:218
	;; [unrolled: 1-line block ×3, first 2 shown]
	ds_read_b64 v[26:27], v78 offset:11232
                                        ; implicit-def: $vgpr0_vgpr1
	s_and_saveexec_b32 s1, s0
	s_cbranch_execz .LBB0_17
; %bb.16:
	ds_read_b64 v[2:3], v78 offset:3888
	ds_read_b64 v[22:23], v78 offset:8208
	;; [unrolled: 1-line block ×3, first 2 shown]
.LBB0_17:
	s_or_b32 exec_lo, exec_lo, s1
	v_and_b32_e32 v82, 0xff, v76
	v_add_nc_u32_e32 v79, 0xa2, v76
	v_mov_b32_e32 v30, 0xcccd
	v_add_nc_u32_e32 v80, 0x144, v76
	v_add_nc_u32_e32 v77, 0x1e6, v76
	v_mul_lo_u16 v31, 0xcd, v82
	s_mov_b32 s2, 0xe8584caa
	v_mul_u32_u24_sdwa v32, v79, v30 dst_sel:DWORD dst_unused:UNUSED_PAD src0_sel:WORD_0 src1_sel:DWORD
	v_mul_u32_u24_sdwa v33, v80, v30 dst_sel:DWORD dst_unused:UNUSED_PAD src0_sel:WORD_0 src1_sel:DWORD
	;; [unrolled: 1-line block ×3, first 2 shown]
	v_lshrrev_b16 v81, 11, v31
	s_mov_b32 s3, 0xbfebb67a
	v_lshrrev_b32_e32 v110, 19, v32
	v_lshrrev_b32_e32 v111, 19, v33
	;; [unrolled: 1-line block ×3, first 2 shown]
	v_mul_lo_u16 v31, v81, 10
	v_mov_b32_e32 v33, 5
	v_mul_lo_u16 v32, v110, 10
	v_mul_lo_u16 v34, v111, 10
	s_mov_b32 s7, 0x3febb67a
	v_sub_nc_u16 v112, v76, v31
	s_mov_b32 s6, s2
	v_sub_nc_u16 v113, v79, v32
	v_mul_lo_u16 v32, v114, 10
	v_sub_nc_u16 v115, v80, v34
	v_lshlrev_b32_sdwa v30, v33, v112 dst_sel:DWORD dst_unused:UNUSED_PAD src0_sel:DWORD src1_sel:BYTE_0
	v_lshlrev_b32_sdwa v31, v33, v113 dst_sel:DWORD dst_unused:UNUSED_PAD src0_sel:DWORD src1_sel:WORD_0
	v_sub_nc_u16 v83, v77, v32
	v_lshlrev_b32_sdwa v84, v33, v115 dst_sel:DWORD dst_unused:UNUSED_PAD src0_sel:DWORD src1_sel:WORD_0
	s_clause 0x3
	global_load_dwordx4 v[34:37], v30, s[8:9] offset:16
	global_load_dwordx4 v[38:41], v31, s[8:9] offset:16
	global_load_dwordx4 v[64:67], v31, s[8:9]
	global_load_dwordx4 v[72:75], v84, s[8:9]
	v_lshlrev_b32_sdwa v31, v33, v83 dst_sel:DWORD dst_unused:UNUSED_PAD src0_sel:DWORD src1_sel:WORD_0
	s_clause 0x3
	global_load_dwordx4 v[68:71], v30, s[8:9]
	global_load_dwordx4 v[84:87], v84, s[8:9] offset:16
	global_load_dwordx4 v[88:91], v31, s[8:9]
	global_load_dwordx4 v[92:95], v31, s[8:9] offset:16
	s_waitcnt vmcnt(0) lgkmcnt(0)
	s_barrier
	buffer_gl0_inv
	v_mul_f64 v[30:31], v[12:13], v[36:37]
	v_mul_f64 v[32:33], v[14:15], v[40:41]
	;; [unrolled: 1-line block ×13, first 2 shown]
	v_fma_f64 v[56:57], v[56:57], v[34:35], v[30:31]
	v_fma_f64 v[30:31], v[58:59], v[38:39], v[32:33]
	;; [unrolled: 1-line block ×6, first 2 shown]
	v_mul_f64 v[20:21], v[20:21], v[86:87]
	v_fma_f64 v[46:47], v[28:29], v[88:89], v[104:105]
	v_mul_f64 v[86:87], v[28:29], v[90:91]
	v_fma_f64 v[58:59], v[24:25], v[92:93], v[106:107]
	v_mul_f64 v[24:25], v[24:25], v[94:95]
	v_fma_f64 v[28:29], v[12:13], v[34:35], -v[36:37]
	v_fma_f64 v[68:69], v[6:7], v[68:69], -v[70:71]
	;; [unrolled: 1-line block ×5, first 2 shown]
	v_add_f64 v[10:11], v[52:53], v[30:31]
	v_add_f64 v[8:9], v[66:67], v[56:57]
	;; [unrolled: 1-line block ×3, first 2 shown]
	v_fma_f64 v[64:65], v[26:27], v[84:85], -v[20:21]
	v_add_f64 v[20:21], v[48:49], v[66:67]
	v_fma_f64 v[74:75], v[22:23], v[88:89], -v[86:87]
	v_add_f64 v[14:15], v[46:47], v[58:59]
	;; [unrolled: 2-line block ×3, first 2 shown]
	v_add_f64 v[22:23], v[68:69], -v[28:29]
	v_add_f64 v[24:25], v[50:51], v[52:53]
	v_add_f64 v[36:37], v[70:71], -v[6:7]
	v_add_f64 v[26:27], v[44:45], v[32:33]
	v_fma_f64 v[10:11], v[10:11], -0.5, v[50:51]
	v_fma_f64 v[8:9], v[8:9], -0.5, v[48:49]
	;; [unrolled: 1-line block ×3, first 2 shown]
	v_add_f64 v[38:39], v[72:73], -v[64:65]
	v_add_f64 v[20:21], v[20:21], v[56:57]
	v_mov_b32_e32 v48, 0xf0
	v_fma_f64 v[14:15], v[14:15], -0.5, v[42:43]
	v_add_f64 v[40:41], v[74:75], -v[0:1]
	v_add_f64 v[34:35], v[34:35], v[58:59]
	v_add_f64 v[24:25], v[24:25], v[30:31]
	;; [unrolled: 1-line block ×3, first 2 shown]
	v_fma_f64 v[44:45], v[36:37], s[2:3], v[10:11]
	v_fma_f64 v[42:43], v[22:23], s[2:3], v[8:9]
	;; [unrolled: 1-line block ×6, first 2 shown]
	v_mov_b32_e32 v8, 3
	v_fma_f64 v[36:37], v[40:41], s[2:3], v[14:15]
	v_fma_f64 v[38:39], v[40:41], s[6:7], v[14:15]
	v_mul_u32_u24_sdwa v13, v81, v48 dst_sel:DWORD dst_unused:UNUSED_PAD src0_sel:WORD_0 src1_sel:DWORD
	v_mul_u32_u24_e32 v14, 0xf0, v110
	v_mul_u32_u24_e32 v15, 0xf0, v111
	v_lshlrev_b32_sdwa v40, v8, v112 dst_sel:DWORD dst_unused:UNUSED_PAD src0_sel:DWORD src1_sel:BYTE_0
	v_lshlrev_b32_sdwa v41, v8, v113 dst_sel:DWORD dst_unused:UNUSED_PAD src0_sel:DWORD src1_sel:WORD_0
	v_lshlrev_b32_sdwa v51, v8, v115 dst_sel:DWORD dst_unused:UNUSED_PAD src0_sel:DWORD src1_sel:WORD_0
	v_mul_lo_u16 v48, v114, 30
	v_add3_u32 v49, 0, v13, v40
	v_add3_u32 v50, 0, v14, v41
	;; [unrolled: 1-line block ×3, first 2 shown]
	ds_write2_b64 v49, v[20:21], v[42:43] offset1:10
	ds_write_b64 v49, v[22:23] offset:160
	ds_write2_b64 v50, v[24:25], v[44:45] offset1:10
	ds_write_b64 v50, v[9:10] offset:160
	;; [unrolled: 2-line block ×3, first 2 shown]
	s_and_saveexec_b32 s1, s0
	s_cbranch_execz .LBB0_19
; %bb.18:
	v_lshlrev_b32_sdwa v9, v8, v83 dst_sel:DWORD dst_unused:UNUSED_PAD src0_sel:DWORD src1_sel:WORD_0
	v_lshlrev_b32_sdwa v8, v8, v48 dst_sel:DWORD dst_unused:UNUSED_PAD src0_sel:DWORD src1_sel:WORD_0
	v_add3_u32 v8, 0, v9, v8
	ds_write2_b64 v8, v[34:35], v[36:37] offset1:10
	ds_write_b64 v8, v[38:39] offset:160
.LBB0_19:
	s_or_b32 exec_lo, exec_lo, s1
	v_add_nc_u32_e32 v8, 0xa00, v78
	v_add_nc_u32_e32 v20, 0x2000, v78
	;; [unrolled: 1-line block ×3, first 2 shown]
	s_waitcnt lgkmcnt(0)
	s_barrier
	buffer_gl0_inv
	ds_read2_b64 v[12:15], v78 offset1:162
	ds_read2_b64 v[8:11], v8 offset0:4 offset1:220
	ds_read2_b64 v[24:27], v20 offset0:56 offset1:218
	;; [unrolled: 1-line block ×3, first 2 shown]
	ds_read_b64 v[40:41], v78 offset:11232
	v_lshl_add_u32 v81, v76, 3, 0
	s_and_saveexec_b32 s1, s0
	s_cbranch_execz .LBB0_21
; %bb.20:
	ds_read_b64 v[36:37], v78 offset:8208
	ds_read_b64 v[34:35], v81 offset:3888
	;; [unrolled: 1-line block ×3, first 2 shown]
.LBB0_21:
	s_or_b32 exec_lo, exec_lo, s1
	v_add_f64 v[42:43], v[68:69], v[28:29]
	v_add_f64 v[44:45], v[70:71], v[6:7]
	;; [unrolled: 1-line block ×5, first 2 shown]
	v_add_f64 v[56:57], v[66:67], -v[56:57]
	v_add_f64 v[66:67], v[18:19], v[70:71]
	v_add_f64 v[70:71], v[4:5], v[72:73]
	;; [unrolled: 1-line block ×3, first 2 shown]
	v_add_f64 v[30:31], v[52:53], -v[30:31]
	v_add_f64 v[46:47], v[46:47], -v[58:59]
	s_mov_b32 s2, 0xe8584caa
	s_mov_b32 s3, 0x3febb67a
	;; [unrolled: 1-line block ×4, first 2 shown]
	s_waitcnt lgkmcnt(0)
	s_barrier
	buffer_gl0_inv
	v_fma_f64 v[16:17], v[42:43], -0.5, v[16:17]
	v_fma_f64 v[18:19], v[44:45], -0.5, v[18:19]
	v_add_f64 v[42:43], v[32:33], -v[54:55]
	v_fma_f64 v[4:5], v[84:85], -0.5, v[4:5]
	v_fma_f64 v[2:3], v[86:87], -0.5, v[2:3]
	v_add_f64 v[28:29], v[68:69], v[28:29]
	v_add_f64 v[6:7], v[66:67], v[6:7]
	;; [unrolled: 1-line block ×4, first 2 shown]
	v_fma_f64 v[0:1], v[56:57], s[2:3], v[16:17]
	v_fma_f64 v[54:55], v[30:31], s[2:3], v[18:19]
	;; [unrolled: 1-line block ×8, first 2 shown]
	ds_write2_b64 v49, v[28:29], v[0:1] offset1:10
	ds_write_b64 v49, v[16:17] offset:160
	ds_write2_b64 v50, v[6:7], v[54:55] offset1:10
	ds_write_b64 v50, v[18:19] offset:160
	;; [unrolled: 2-line block ×3, first 2 shown]
	s_and_saveexec_b32 s1, s0
	s_cbranch_execz .LBB0_23
; %bb.22:
	v_mov_b32_e32 v0, 3
	v_lshlrev_b32_sdwa v1, v0, v83 dst_sel:DWORD dst_unused:UNUSED_PAD src0_sel:DWORD src1_sel:WORD_0
	v_lshlrev_b32_sdwa v0, v0, v48 dst_sel:DWORD dst_unused:UNUSED_PAD src0_sel:DWORD src1_sel:WORD_0
	v_add3_u32 v0, 0, v1, v0
	ds_write2_b64 v0, v[32:33], v[44:45] offset1:10
	ds_write_b64 v0, v[42:43] offset:160
.LBB0_23:
	s_or_b32 exec_lo, exec_lo, s1
	v_add_nc_u32_e32 v0, 0xa00, v78
	v_add_nc_u32_e32 v16, 0x2000, v78
	;; [unrolled: 1-line block ×3, first 2 shown]
	s_waitcnt lgkmcnt(0)
	s_barrier
	buffer_gl0_inv
	ds_read2_b64 v[4:7], v78 offset1:162
	ds_read2_b64 v[0:3], v0 offset0:4 offset1:220
	ds_read2_b64 v[28:31], v16 offset0:56 offset1:218
	;; [unrolled: 1-line block ×3, first 2 shown]
	ds_read_b64 v[46:47], v78 offset:11232
	s_and_saveexec_b32 s1, s0
	s_cbranch_execz .LBB0_25
; %bb.24:
	ds_read_b64 v[44:45], v78 offset:8208
	ds_read_b64 v[32:33], v81 offset:3888
	;; [unrolled: 1-line block ×3, first 2 shown]
.LBB0_25:
	s_or_b32 exec_lo, exec_lo, s1
	v_mov_b32_e32 v48, 0x8889
	v_mul_lo_u16 v49, 0x89, v82
	s_mov_b32 s2, 0xe8584caa
	s_mov_b32 s3, 0xbfebb67a
	;; [unrolled: 1-line block ×3, first 2 shown]
	v_mul_u32_u24_sdwa v50, v79, v48 dst_sel:DWORD dst_unused:UNUSED_PAD src0_sel:WORD_0 src1_sel:DWORD
	v_mul_u32_u24_sdwa v51, v80, v48 dst_sel:DWORD dst_unused:UNUSED_PAD src0_sel:WORD_0 src1_sel:DWORD
	v_lshrrev_b16 v75, 12, v49
	v_mul_u32_u24_sdwa v48, v77, v48 dst_sel:DWORD dst_unused:UNUSED_PAD src0_sel:WORD_0 src1_sel:DWORD
	s_mov_b32 s6, s2
	v_lshrrev_b32_e32 v112, 20, v50
	v_lshrrev_b32_e32 v113, 20, v51
	v_mul_lo_u16 v49, v75, 30
	v_lshrrev_b32_e32 v114, 20, v48
	v_mov_b32_e32 v50, 5
	v_mul_lo_u16 v48, v112, 30
	v_mul_lo_u16 v51, v113, 30
	v_sub_nc_u16 v115, v76, v49
	v_mul_lo_u16 v49, v114, 30
	v_sub_nc_u16 v116, v79, v48
	v_sub_nc_u16 v117, v80, v51
	v_lshlrev_b32_sdwa v48, v50, v115 dst_sel:DWORD dst_unused:UNUSED_PAD src0_sel:DWORD src1_sel:BYTE_0
	v_sub_nc_u16 v70, v77, v49
	s_clause 0x1
	global_load_dwordx4 v[64:67], v48, s[8:9] offset:320
	global_load_dwordx4 v[71:74], v48, s[8:9] offset:336
	v_lshlrev_b32_sdwa v49, v50, v116 dst_sel:DWORD dst_unused:UNUSED_PAD src0_sel:DWORD src1_sel:WORD_0
	v_lshlrev_b32_sdwa v51, v50, v117 dst_sel:DWORD dst_unused:UNUSED_PAD src0_sel:DWORD src1_sel:WORD_0
	;; [unrolled: 1-line block ×3, first 2 shown]
	s_clause 0x5
	global_load_dwordx4 v[82:85], v49, s[8:9] offset:336
	global_load_dwordx4 v[86:89], v49, s[8:9] offset:320
	;; [unrolled: 1-line block ×6, first 2 shown]
	s_waitcnt vmcnt(0) lgkmcnt(0)
	s_barrier
	buffer_gl0_inv
	v_mul_f64 v[48:49], v[2:3], v[66:67]
	v_mul_f64 v[50:51], v[28:29], v[73:74]
	;; [unrolled: 1-line block ×16, first 2 shown]
	v_fma_f64 v[56:57], v[10:11], v[64:65], v[48:49]
	v_fma_f64 v[58:59], v[24:25], v[71:72], v[50:51]
	;; [unrolled: 1-line block ×8, first 2 shown]
	v_fma_f64 v[64:65], v[2:3], v[64:65], -v[66:67]
	v_fma_f64 v[36:37], v[28:29], v[71:72], -v[73:74]
	;; [unrolled: 1-line block ×8, first 2 shown]
	v_add_f64 v[24:25], v[12:13], v[56:57]
	v_add_f64 v[2:3], v[56:57], v[58:59]
	;; [unrolled: 1-line block ×8, first 2 shown]
	v_add_f64 v[26:27], v[64:65], -v[36:37]
	v_add_f64 v[71:72], v[66:67], -v[16:17]
	;; [unrolled: 1-line block ×4, first 2 shown]
	v_add_f64 v[24:25], v[24:25], v[58:59]
	v_fma_f64 v[12:13], v[2:3], -0.5, v[12:13]
	v_fma_f64 v[10:11], v[10:11], -0.5, v[14:15]
	v_add_f64 v[2:3], v[30:31], v[54:55]
	v_fma_f64 v[82:83], v[20:21], -0.5, v[8:9]
	v_add_f64 v[20:21], v[46:47], v[38:39]
	v_fma_f64 v[22:23], v[22:23], -0.5, v[34:35]
	v_mov_b32_e32 v15, 0x2d0
	v_mov_b32_e32 v14, 3
	v_add_f64 v[28:29], v[28:29], v[48:49]
	v_mul_u32_u24_sdwa v15, v75, v15 dst_sel:DWORD dst_unused:UNUSED_PAD src0_sel:WORD_0 src1_sel:DWORD
	v_lshlrev_b32_sdwa v75, v14, v116 dst_sel:DWORD dst_unused:UNUSED_PAD src0_sel:DWORD src1_sel:WORD_0
	v_fma_f64 v[30:31], v[26:27], s[2:3], v[12:13]
	v_fma_f64 v[26:27], v[26:27], s[6:7], v[12:13]
	;; [unrolled: 1-line block ×8, first 2 shown]
	v_lshlrev_b32_sdwa v72, v14, v115 dst_sel:DWORD dst_unused:UNUSED_PAD src0_sel:DWORD src1_sel:BYTE_0
	v_mul_u32_u24_e32 v73, 0x2d0, v112
	v_mul_u32_u24_e32 v74, 0x2d0, v113
	v_mul_lo_u16 v71, 0x5a, v114
	v_add3_u32 v72, 0, v15, v72
	v_lshlrev_b32_sdwa v15, v14, v117 dst_sel:DWORD dst_unused:UNUSED_PAD src0_sel:DWORD src1_sel:WORD_0
	v_add3_u32 v73, 0, v73, v75
	v_add3_u32 v74, 0, v74, v15
	ds_write2_b64 v72, v[24:25], v[30:31] offset1:30
	ds_write_b64 v72, v[26:27] offset:480
	ds_write2_b64 v73, v[28:29], v[34:35] offset1:30
	ds_write_b64 v73, v[46:47] offset:480
	;; [unrolled: 2-line block ×3, first 2 shown]
	s_and_saveexec_b32 s1, s0
	s_cbranch_execz .LBB0_27
; %bb.26:
	v_lshlrev_b32_sdwa v15, v14, v70 dst_sel:DWORD dst_unused:UNUSED_PAD src0_sel:DWORD src1_sel:WORD_0
	v_lshlrev_b32_sdwa v14, v14, v71 dst_sel:DWORD dst_unused:UNUSED_PAD src0_sel:DWORD src1_sel:WORD_0
	v_add3_u32 v14, 0, v15, v14
	ds_write2_b64 v14, v[20:21], v[12:13] offset1:30
	ds_write_b64 v14, v[22:23] offset:480
.LBB0_27:
	s_or_b32 exec_lo, exec_lo, s1
	s_waitcnt lgkmcnt(0)
	s_barrier
	buffer_gl0_inv
	ds_read_b64 v[14:15], v78
	ds_read_b64 v[24:25], v78 offset:2160
	ds_read_b64 v[26:27], v78 offset:4320
	;; [unrolled: 1-line block ×5, first 2 shown]
	v_cmp_gt_u32_e64 s1, 0x6c, v76
	s_and_saveexec_b32 s2, s1
	s_cbranch_execz .LBB0_29
; %bb.28:
	ds_read_b64 v[2:3], v78 offset:1296
	ds_read_b64 v[8:9], v78 offset:3456
	;; [unrolled: 1-line block ×6, first 2 shown]
.LBB0_29:
	s_or_b32 exec_lo, exec_lo, s2
	v_add_f64 v[46:47], v[64:65], v[36:37]
	v_add_f64 v[82:83], v[66:67], v[16:17]
	v_add_f64 v[84:85], v[68:69], v[18:19]
	v_add_f64 v[86:87], v[44:45], v[42:43]
	v_add_f64 v[64:65], v[4:5], v[64:65]
	v_add_f64 v[56:57], v[56:57], -v[58:59]
	v_add_f64 v[58:59], v[6:7], v[66:67]
	v_add_f64 v[66:67], v[0:1], v[68:69]
	;; [unrolled: 1-line block ×3, first 2 shown]
	v_add_f64 v[38:39], v[40:41], -v[38:39]
	s_mov_b32 s2, 0xe8584caa
	s_mov_b32 s3, 0x3febb67a
	;; [unrolled: 1-line block ×4, first 2 shown]
	s_waitcnt lgkmcnt(0)
	s_barrier
	buffer_gl0_inv
	v_fma_f64 v[4:5], v[46:47], -0.5, v[4:5]
	v_add_f64 v[46:47], v[52:53], -v[48:49]
	v_fma_f64 v[6:7], v[82:83], -0.5, v[6:7]
	v_add_f64 v[48:49], v[50:51], -v[54:55]
	v_fma_f64 v[0:1], v[84:85], -0.5, v[0:1]
	v_fma_f64 v[32:33], v[86:87], -0.5, v[32:33]
	v_add_f64 v[50:51], v[64:65], v[36:37]
	v_add_f64 v[52:53], v[58:59], v[16:17]
	;; [unrolled: 1-line block ×4, first 2 shown]
	v_fma_f64 v[18:19], v[56:57], s[2:3], v[4:5]
	v_fma_f64 v[42:43], v[56:57], s[6:7], v[4:5]
	;; [unrolled: 1-line block ×8, first 2 shown]
	ds_write2_b64 v72, v[50:51], v[18:19] offset1:30
	ds_write_b64 v72, v[42:43] offset:480
	ds_write2_b64 v73, v[52:53], v[44:45] offset1:30
	ds_write_b64 v73, v[6:7] offset:480
	;; [unrolled: 2-line block ×3, first 2 shown]
	s_and_saveexec_b32 s2, s0
	s_cbranch_execz .LBB0_31
; %bb.30:
	v_mov_b32_e32 v6, 3
	v_lshlrev_b32_sdwa v7, v6, v70 dst_sel:DWORD dst_unused:UNUSED_PAD src0_sel:DWORD src1_sel:WORD_0
	v_lshlrev_b32_sdwa v6, v6, v71 dst_sel:DWORD dst_unused:UNUSED_PAD src0_sel:DWORD src1_sel:WORD_0
	v_add3_u32 v6, 0, v7, v6
	ds_write2_b64 v6, v[40:41], v[4:5] offset1:30
	ds_write_b64 v6, v[46:47] offset:480
.LBB0_31:
	s_or_b32 exec_lo, exec_lo, s2
	s_waitcnt lgkmcnt(0)
	s_barrier
	buffer_gl0_inv
	ds_read_b64 v[18:19], v78
	ds_read_b64 v[48:49], v78 offset:2160
	ds_read_b64 v[6:7], v78 offset:4320
	;; [unrolled: 1-line block ×5, first 2 shown]
	s_and_saveexec_b32 s2, s1
	s_cbranch_execz .LBB0_33
; %bb.32:
	ds_read_b64 v[16:17], v78 offset:1296
	ds_read_b64 v[36:37], v78 offset:3456
	ds_read_b64 v[0:1], v78 offset:5616
	ds_read_b64 v[40:41], v78 offset:7776
	ds_read_b64 v[4:5], v78 offset:9936
	ds_read_b64 v[46:47], v78 offset:12096
.LBB0_33:
	s_or_b32 exec_lo, exec_lo, s2
	v_mov_b32_e32 v44, 0x2d83
	v_add_nc_u32_e32 v45, 0xffffffa6, v76
	v_cmp_gt_u32_e64 s2, 0x5a, v76
	v_mov_b32_e32 v51, 5
	s_mov_b32 s7, 0x3febb67a
	v_mul_u32_u24_sdwa v44, v79, v44 dst_sel:DWORD dst_unused:UNUSED_PAD src0_sel:WORD_0 src1_sel:DWORD
	v_cndmask_b32_e64 v114, v45, v76, s2
	v_mov_b32_e32 v45, 0
	v_lshrrev_b32_e32 v113, 20, v44
	v_mul_i32_i24_e32 v44, 5, v114
	v_mul_lo_u16 v50, 0x5a, v113
	v_lshlrev_b64 v[44:45], 4, v[44:45]
	v_sub_nc_u16 v82, v79, v50
	v_add_co_u32 v44, s2, s8, v44
	v_mul_u32_u24_sdwa v50, v82, v51 dst_sel:DWORD dst_unused:UNUSED_PAD src0_sel:WORD_0 src1_sel:DWORD
	v_add_co_ci_u32_e64 v45, s2, s9, v45, s2
	s_mov_b32 s2, 0xe8584caa
	s_mov_b32 s3, 0xbfebb67a
	v_lshlrev_b32_e32 v58, 4, v50
	s_mov_b32 s6, s2
	s_clause 0x9
	global_load_dwordx4 v[50:53], v[44:45], off offset:1312
	global_load_dwordx4 v[54:57], v[44:45], off offset:1344
	global_load_dwordx4 v[64:67], v58, s[8:9] offset:1312
	global_load_dwordx4 v[68:71], v58, s[8:9] offset:1344
	global_load_dwordx4 v[72:75], v[44:45], off offset:1280
	global_load_dwordx4 v[83:86], v58, s[8:9] offset:1280
	global_load_dwordx4 v[87:90], v[44:45], off offset:1296
	global_load_dwordx4 v[91:94], v[44:45], off offset:1328
	global_load_dwordx4 v[95:98], v58, s[8:9] offset:1296
	global_load_dwordx4 v[99:102], v58, s[8:9] offset:1328
	s_waitcnt vmcnt(0) lgkmcnt(0)
	s_barrier
	buffer_gl0_inv
	v_mul_f64 v[44:45], v[30:31], v[52:53]
	v_mul_f64 v[58:59], v[34:35], v[56:57]
	;; [unrolled: 1-line block ×9, first 2 shown]
	v_fma_f64 v[44:45], v[38:39], v[50:51], -v[44:45]
	v_fma_f64 v[38:39], v[42:43], v[54:55], -v[58:59]
	v_mul_f64 v[58:59], v[46:47], v[70:71]
	v_mul_f64 v[70:71], v[8:9], v[85:86]
	v_fma_f64 v[42:43], v[40:41], v[64:65], -v[103:104]
	v_fma_f64 v[40:41], v[46:47], v[68:69], -v[105:106]
	v_mul_f64 v[46:47], v[48:49], v[74:75]
	v_mul_f64 v[74:75], v[6:7], v[89:90]
	;; [unrolled: 1-line block ×5, first 2 shown]
	v_fma_f64 v[111:112], v[30:31], v[50:51], v[52:53]
	v_fma_f64 v[34:35], v[34:35], v[54:55], v[56:57]
	v_fma_f64 v[30:31], v[48:49], v[72:73], -v[107:108]
	v_fma_f64 v[54:55], v[20:21], v[64:65], v[66:67]
	v_mul_f64 v[56:57], v[26:27], v[89:90]
	v_mul_f64 v[64:65], v[10:11], v[97:98]
	v_add_f64 v[52:53], v[44:45], v[38:39]
	v_fma_f64 v[107:108], v[22:23], v[68:69], v[58:59]
	v_fma_f64 v[20:21], v[36:37], v[83:84], -v[70:71]
	v_mul_f64 v[58:59], v[28:29], v[93:94]
	v_add_f64 v[36:37], v[42:43], v[40:41]
	v_mul_f64 v[68:69], v[12:13], v[101:102]
	v_fma_f64 v[46:47], v[24:25], v[72:73], v[46:47]
	v_fma_f64 v[48:49], v[26:27], v[87:88], v[74:75]
	;; [unrolled: 1-line block ×5, first 2 shown]
	v_add_f64 v[10:11], v[111:112], v[34:35]
	v_add_f64 v[12:13], v[111:112], -v[34:35]
	v_fma_f64 v[8:9], v[8:9], v[83:84], v[85:86]
	v_fma_f64 v[66:67], v[6:7], v[87:88], -v[56:57]
	v_fma_f64 v[70:71], v[52:53], -0.5, v[30:31]
	v_add_f64 v[83:84], v[54:55], v[107:108]
	v_add_f64 v[85:86], v[54:55], -v[107:108]
	v_fma_f64 v[28:29], v[32:33], v[91:92], -v[58:59]
	v_fma_f64 v[36:37], v[36:37], -0.5, v[20:21]
	v_fma_f64 v[52:53], v[0:1], v[95:96], -v[64:65]
	v_fma_f64 v[26:27], v[4:5], v[99:100], -v[68:69]
	v_add_f64 v[4:5], v[44:45], -v[38:39]
	v_add_f64 v[0:1], v[48:49], v[50:51]
	v_add_f64 v[32:33], v[42:43], -v[40:41]
	v_add_f64 v[6:7], v[22:23], v[24:25]
	v_fma_f64 v[10:11], v[10:11], -0.5, v[46:47]
	v_add_f64 v[46:47], v[46:47], v[111:112]
	v_fma_f64 v[72:73], v[12:13], s[6:7], v[70:71]
	v_fma_f64 v[74:75], v[12:13], s[2:3], v[70:71]
	v_fma_f64 v[12:13], v[83:84], -0.5, v[8:9]
	v_add_f64 v[83:84], v[66:67], -v[28:29]
	v_fma_f64 v[64:65], v[85:86], s[6:7], v[36:37]
	v_fma_f64 v[58:59], v[85:86], s[2:3], v[36:37]
	v_add_f64 v[36:37], v[14:15], v[48:49]
	v_add_f64 v[85:86], v[2:3], v[22:23]
	v_add_f64 v[87:88], v[52:53], -v[26:27]
	v_add_f64 v[8:9], v[8:9], v[54:55]
	v_fma_f64 v[14:15], v[0:1], -0.5, v[14:15]
	v_fma_f64 v[89:90], v[6:7], -0.5, v[2:3]
	v_fma_f64 v[68:69], v[4:5], s[2:3], v[10:11]
	v_fma_f64 v[70:71], v[4:5], s[6:7], v[10:11]
	v_add_f64 v[34:35], v[46:47], v[34:35]
	v_mul_f64 v[4:5], v[72:73], s[2:3]
	v_mul_f64 v[6:7], v[74:75], s[2:3]
	v_fma_f64 v[54:55], v[32:33], s[2:3], v[12:13]
	v_fma_f64 v[56:57], v[32:33], s[6:7], v[12:13]
	v_mul_f64 v[10:11], v[64:65], s[2:3]
	v_mul_f64 v[12:13], v[58:59], s[2:3]
	v_add_f64 v[32:33], v[36:37], v[50:51]
	v_add_f64 v[0:1], v[85:86], v[24:25]
	;; [unrolled: 1-line block ×3, first 2 shown]
	v_fma_f64 v[36:37], v[83:84], s[2:3], v[14:15]
	v_fma_f64 v[14:15], v[83:84], s[6:7], v[14:15]
	v_fma_f64 v[46:47], v[68:69], 0.5, v[4:5]
	v_fma_f64 v[83:84], v[70:71], -0.5, v[6:7]
	v_fma_f64 v[6:7], v[87:88], s[2:3], v[89:90]
	v_fma_f64 v[4:5], v[87:88], s[6:7], v[89:90]
	v_fma_f64 v[10:11], v[54:55], 0.5, v[10:11]
	v_fma_f64 v[8:9], v[56:57], -0.5, v[12:13]
	v_add_f64 v[12:13], v[32:33], v[34:35]
	v_add_f64 v[85:86], v[32:33], -v[34:35]
	v_cmp_lt_u32_e64 s2, 0x59, v76
	v_add_f64 v[32:33], v[0:1], -v[2:3]
	v_add_f64 v[87:88], v[36:37], v[46:47]
	v_add_f64 v[46:47], v[36:37], -v[46:47]
	v_add_f64 v[89:90], v[14:15], v[83:84]
	v_add_f64 v[14:15], v[14:15], -v[83:84]
	v_add_f64 v[34:35], v[6:7], -v[10:11]
	;; [unrolled: 1-line block ×3, first 2 shown]
	v_cndmask_b32_e64 v83, 0, 0x10e0, s2
	v_lshlrev_b32_e32 v84, 3, v114
	v_add3_u32 v84, 0, v83, v84
	v_mul_lo_u16 v83, 0x21c, v113
	v_add_nc_u32_e32 v91, 0x400, v84
	v_add_nc_u32_e32 v92, 0x800, v84
	ds_write2_b64 v84, v[12:13], v[87:88] offset1:90
	ds_write2_b64 v91, v[89:90], v[85:86] offset0:52 offset1:142
	ds_write2_b64 v92, v[46:47], v[14:15] offset0:104 offset1:194
	s_and_saveexec_b32 s2, s1
	s_cbranch_execz .LBB0_35
; %bb.34:
	v_add_f64 v[6:7], v[6:7], v[10:11]
	v_add_f64 v[0:1], v[0:1], v[2:3]
	v_add_f64 v[2:3], v[4:5], v[8:9]
	v_mov_b32_e32 v4, 3
	v_lshlrev_b32_sdwa v5, v4, v82 dst_sel:DWORD dst_unused:UNUSED_PAD src0_sel:DWORD src1_sel:WORD_0
	v_lshlrev_b32_sdwa v4, v4, v83 dst_sel:DWORD dst_unused:UNUSED_PAD src0_sel:DWORD src1_sel:WORD_0
	v_add3_u32 v4, 0, v5, v4
	v_add_nc_u32_e32 v5, 0x400, v4
	v_add_nc_u32_e32 v8, 0x800, v4
	ds_write2_b64 v4, v[0:1], v[6:7] offset1:90
	ds_write2_b64 v5, v[2:3], v[32:33] offset0:52 offset1:142
	ds_write2_b64 v8, v[34:35], v[36:37] offset0:104 offset1:194
.LBB0_35:
	s_or_b32 exec_lo, exec_lo, s2
	v_add_nc_u32_e32 v0, 0xa00, v78
	v_add_nc_u32_e32 v8, 0x2000, v78
	;; [unrolled: 1-line block ×3, first 2 shown]
	s_waitcnt lgkmcnt(0)
	s_barrier
	buffer_gl0_inv
	ds_read2_b64 v[4:7], v78 offset1:162
	ds_read2_b64 v[0:3], v0 offset0:4 offset1:220
	ds_read2_b64 v[12:15], v8 offset0:56 offset1:218
	;; [unrolled: 1-line block ×3, first 2 shown]
	ds_read_b64 v[46:47], v78 offset:11232
	s_and_saveexec_b32 s2, s0
	s_cbranch_execz .LBB0_37
; %bb.36:
	ds_read_b64 v[34:35], v78 offset:8208
	ds_read_b64 v[32:33], v81 offset:3888
	;; [unrolled: 1-line block ×3, first 2 shown]
.LBB0_37:
	s_or_b32 exec_lo, exec_lo, s2
	v_add_f64 v[85:86], v[66:67], v[28:29]
	v_add_f64 v[87:88], v[52:53], v[26:27]
	;; [unrolled: 1-line block ×3, first 2 shown]
	v_add_f64 v[48:49], v[48:49], -v[50:51]
	v_add_f64 v[30:31], v[30:31], v[44:45]
	v_mul_f64 v[44:45], v[72:73], 0.5
	v_mul_f64 v[50:51], v[74:75], -0.5
	v_add_f64 v[52:53], v[16:17], v[52:53]
	v_add_f64 v[20:21], v[20:21], v[42:43]
	v_add_f64 v[72:73], v[22:23], -v[24:25]
	v_mul_f64 v[22:23], v[64:65], 0.5
	v_mul_f64 v[24:25], v[58:59], -0.5
	s_mov_b32 s2, 0xe8584caa
	s_mov_b32 s3, 0x3febb67a
	;; [unrolled: 1-line block ×4, first 2 shown]
	s_waitcnt lgkmcnt(0)
	s_barrier
	buffer_gl0_inv
	v_fma_f64 v[42:43], v[85:86], -0.5, v[18:19]
	v_fma_f64 v[58:59], v[87:88], -0.5, v[16:17]
	v_add_f64 v[28:29], v[66:67], v[28:29]
	v_add_f64 v[30:31], v[30:31], v[38:39]
	v_fma_f64 v[44:45], v[68:69], s[2:3], v[44:45]
	v_fma_f64 v[50:51], v[70:71], s[2:3], v[50:51]
	v_add_f64 v[16:17], v[52:53], v[26:27]
	v_add_f64 v[18:19], v[20:21], v[40:41]
	v_fma_f64 v[20:21], v[54:55], s[2:3], v[22:23]
	v_fma_f64 v[22:23], v[56:57], s[2:3], v[24:25]
	v_add_nc_u32_e32 v54, 0x400, v84
	v_add_nc_u32_e32 v55, 0x800, v84
	v_fma_f64 v[40:41], v[48:49], s[2:3], v[42:43]
	v_fma_f64 v[42:43], v[48:49], s[6:7], v[42:43]
	;; [unrolled: 1-line block ×4, first 2 shown]
	v_add_f64 v[48:49], v[28:29], v[30:31]
	v_add_f64 v[28:29], v[28:29], -v[30:31]
	v_add_f64 v[38:39], v[16:17], -v[18:19]
	v_add_f64 v[30:31], v[40:41], v[44:45]
	v_add_f64 v[52:53], v[42:43], v[50:51]
	v_add_f64 v[44:45], v[40:41], -v[44:45]
	v_add_f64 v[50:51], v[42:43], -v[50:51]
	v_add_f64 v[40:41], v[24:25], -v[20:21]
	v_add_f64 v[42:43], v[26:27], -v[22:23]
	ds_write2_b64 v84, v[48:49], v[30:31] offset1:90
	ds_write2_b64 v54, v[52:53], v[28:29] offset0:52 offset1:142
	ds_write2_b64 v55, v[44:45], v[50:51] offset0:104 offset1:194
	s_and_saveexec_b32 s2, s1
	s_cbranch_execz .LBB0_39
; %bb.38:
	v_add_f64 v[16:17], v[16:17], v[18:19]
	v_add_f64 v[18:19], v[24:25], v[20:21]
	;; [unrolled: 1-line block ×3, first 2 shown]
	v_mov_b32_e32 v22, 3
	v_lshlrev_b32_sdwa v23, v22, v82 dst_sel:DWORD dst_unused:UNUSED_PAD src0_sel:DWORD src1_sel:WORD_0
	v_lshlrev_b32_sdwa v22, v22, v83 dst_sel:DWORD dst_unused:UNUSED_PAD src0_sel:DWORD src1_sel:WORD_0
	v_add3_u32 v22, 0, v23, v22
	v_add_nc_u32_e32 v23, 0x400, v22
	v_add_nc_u32_e32 v24, 0x800, v22
	ds_write2_b64 v22, v[16:17], v[18:19] offset1:90
	ds_write2_b64 v23, v[20:21], v[38:39] offset0:52 offset1:142
	ds_write2_b64 v24, v[40:41], v[42:43] offset0:104 offset1:194
.LBB0_39:
	s_or_b32 exec_lo, exec_lo, s2
	v_add_nc_u32_e32 v20, 0xa00, v78
	v_add_nc_u32_e32 v24, 0x2000, v78
	;; [unrolled: 1-line block ×3, first 2 shown]
	s_waitcnt lgkmcnt(0)
	s_barrier
	buffer_gl0_inv
	ds_read2_b64 v[16:19], v78 offset1:162
	ds_read2_b64 v[20:23], v20 offset0:4 offset1:220
	ds_read2_b64 v[24:27], v24 offset0:56 offset1:218
	;; [unrolled: 1-line block ×3, first 2 shown]
	ds_read_b64 v[48:49], v78 offset:11232
	s_and_saveexec_b32 s1, s0
	s_cbranch_execz .LBB0_41
; %bb.40:
	ds_read_b64 v[40:41], v78 offset:8208
	ds_read_b64 v[38:39], v81 offset:3888
	;; [unrolled: 1-line block ×3, first 2 shown]
.LBB0_41:
	s_or_b32 exec_lo, exec_lo, s1
	s_and_saveexec_b32 s1, vcc_lo
	s_cbranch_execz .LBB0_44
; %bb.42:
	v_lshlrev_b32_e32 v44, 1, v80
	v_mov_b32_e32 v45, 0
	v_add_nc_u32_e32 v96, 0xa2, v76
	v_add_nc_u32_e32 v97, 0x144, v76
	s_mov_b32 s2, 0xe8584caa
	s_mov_b32 s3, 0xbfebb67a
	v_lshlrev_b64 v[50:51], 4, v[44:45]
	v_lshlrev_b32_e32 v44, 1, v79
	v_mul_hi_u32 v86, 0xf2b9d649, v97
	v_lshlrev_b64 v[58:59], 4, v[44:45]
	v_add_co_u32 v52, vcc_lo, s8, v50
	v_add_co_ci_u32_e32 v53, vcc_lo, s9, v51, vcc_lo
	v_lshlrev_b32_e32 v44, 1, v76
	v_add_co_u32 v50, vcc_lo, 0x2000, v52
	v_add_co_ci_u32_e32 v51, vcc_lo, 0, v53, vcc_lo
	v_add_co_u32 v52, vcc_lo, 0x2120, v52
	v_add_co_ci_u32_e32 v53, vcc_lo, 0, v53, vcc_lo
	v_add_co_u32 v58, vcc_lo, s8, v58
	s_clause 0x1
	global_load_dwordx4 v[54:57], v[50:51], off offset:288
	global_load_dwordx4 v[64:67], v[52:53], off offset:16
	v_add_co_ci_u32_e32 v59, vcc_lo, s9, v59, vcc_lo
	v_lshlrev_b64 v[50:51], 4, v[44:45]
	v_add_co_u32 v52, vcc_lo, 0x2120, v58
	v_add_co_ci_u32_e32 v53, vcc_lo, 0, v59, vcc_lo
	v_lshrrev_b32_e32 v99, 9, v86
	v_add_co_u32 v44, vcc_lo, s8, v50
	v_add_co_ci_u32_e32 v68, vcc_lo, s9, v51, vcc_lo
	v_add_co_u32 v50, vcc_lo, 0x2000, v58
	v_add_co_ci_u32_e32 v51, vcc_lo, 0, v59, vcc_lo
	;; [unrolled: 2-line block ×4, first 2 shown]
	s_clause 0x3
	global_load_dwordx4 v[68:71], v[50:51], off offset:288
	global_load_dwordx4 v[72:75], v[52:53], off offset:16
	;; [unrolled: 1-line block ×4, first 2 shown]
	v_mul_lo_u32 v44, s5, v62
	v_mad_u64_u32 v[51:52], null, s4, v62, 0
	v_mul_hi_u32 v62, 0xf2b9d649, v76
	v_mul_lo_u32 v53, s4, v63
	v_mul_hi_u32 v63, 0xf2b9d649, v96
	v_lshlrev_b64 v[58:59], 4, v[60:61]
	v_mul_u32_u24_e32 v100, 0x21c, v99
	v_mov_b32_e32 v60, v45
	s_mov_b32 s5, 0x3febb67a
	s_mov_b32 s4, s2
	v_lshrrev_b32_e32 v62, 9, v62
	v_add3_u32 v52, v52, v53, v44
	v_lshrrev_b32_e32 v98, 9, v63
	v_mov_b32_e32 v61, v45
	v_add_nc_u32_e32 v50, 0x1e6, v76
	v_mul_u32_u24_e32 v44, 0x21c, v62
	v_lshlrev_b64 v[51:52], 4, v[51:52]
	v_mul_u32_u24_e32 v53, 0x21c, v98
	v_cmp_gt_u32_e32 vcc_lo, 0x21c, v50
	v_sub_nc_u32_e32 v44, v76, v44
	v_add_co_u32 v51, s1, s14, v51
	v_add_co_ci_u32_e64 v101, s1, s15, v52, s1
	v_lshlrev_b32_e32 v102, 4, v44
	v_sub_nc_u32_e32 v44, v96, v53
	v_add_co_u32 v52, s1, v51, v58
	v_sub_nc_u32_e32 v96, v97, v100
	v_add_co_ci_u32_e64 v53, s1, v101, v59, s1
	v_mad_u32_u24 v44, 0x654, v98, v44
	v_add_nc_u32_e32 v59, 0x21c, v44
	v_lshlrev_b64 v[58:59], 4, v[59:60]
	s_waitcnt vmcnt(5)
	v_mul_f64 v[62:63], v[10:11], v[56:57]
	s_waitcnt vmcnt(4)
	v_mul_f64 v[86:87], v[46:47], v[66:67]
	s_waitcnt lgkmcnt(1)
	v_mul_f64 v[56:57], v[30:31], v[56:57]
	s_waitcnt lgkmcnt(0)
	v_mul_f64 v[66:67], v[48:49], v[66:67]
	v_fma_f64 v[30:31], v[30:31], v[54:55], -v[62:63]
	v_fma_f64 v[48:49], v[48:49], v[64:65], -v[86:87]
	s_waitcnt vmcnt(3)
	v_mul_f64 v[88:89], v[8:9], v[70:71]
	s_waitcnt vmcnt(2)
	v_mul_f64 v[90:91], v[14:15], v[74:75]
	;; [unrolled: 2-line block ×4, first 2 shown]
	v_mul_f64 v[80:81], v[22:23], v[80:81]
	v_mul_f64 v[84:85], v[24:25], v[84:85]
	;; [unrolled: 1-line block ×4, first 2 shown]
	v_fma_f64 v[10:11], v[10:11], v[54:55], v[56:57]
	v_fma_f64 v[46:47], v[46:47], v[64:65], v[66:67]
	v_add_co_u32 v62, s1, v52, v102
	v_add_co_ci_u32_e64 v63, s1, 0, v53, s1
	v_add_co_u32 v54, s1, 0x2000, v62
	v_add_co_ci_u32_e64 v55, s1, 0, v63, s1
	v_add_co_u32 v56, s1, 0x4000, v62
	v_add_f64 v[66:67], v[30:31], v[48:49]
	v_fma_f64 v[28:29], v[28:29], v[68:69], -v[88:89]
	v_fma_f64 v[26:27], v[26:27], v[72:73], -v[90:91]
	;; [unrolled: 1-line block ×4, first 2 shown]
	v_fma_f64 v[2:3], v[2:3], v[78:79], v[80:81]
	v_fma_f64 v[12:13], v[12:13], v[82:83], v[84:85]
	;; [unrolled: 1-line block ×4, first 2 shown]
	v_lshlrev_b64 v[68:69], 4, v[44:45]
	v_add_f64 v[82:83], v[10:11], v[46:47]
	v_add_nc_u32_e32 v44, 0x438, v44
	v_add_f64 v[84:85], v[10:11], -v[46:47]
	v_add_f64 v[10:11], v[0:1], v[10:11]
	v_add_f64 v[86:87], v[20:21], v[30:31]
	v_add_co_ci_u32_e64 v57, s1, 0, v63, s1
	v_lshlrev_b64 v[64:65], 4, v[44:45]
	v_mad_u32_u24 v44, 0x654, v99, v96
	v_add_co_u32 v68, s1, v52, v68
	v_add_co_ci_u32_e64 v69, s1, v53, v69, s1
	v_add_f64 v[90:91], v[18:19], v[28:29]
	v_add_f64 v[70:71], v[28:29], v[26:27]
	;; [unrolled: 1-line block ×4, first 2 shown]
	v_add_f64 v[96:97], v[22:23], -v[24:25]
	v_add_f64 v[78:79], v[2:3], v[12:13]
	v_add_f64 v[22:23], v[4:5], v[2:3]
	;; [unrolled: 1-line block ×3, first 2 shown]
	v_add_f64 v[88:89], v[8:9], -v[14:15]
	v_add_f64 v[8:9], v[6:7], v[8:9]
	v_add_f64 v[92:93], v[28:29], -v[26:27]
	v_add_f64 v[28:29], v[2:3], -v[12:13]
	v_fma_f64 v[66:67], v[66:67], -0.5, v[20:21]
	v_add_nc_u32_e32 v60, 0x21c, v44
	v_add_f64 v[2:3], v[86:87], v[48:49]
	v_lshlrev_b64 v[80:81], 4, v[44:45]
	v_add_co_u32 v58, s1, v52, v58
	v_add_nc_u32_e32 v44, 0x438, v44
	v_add_co_ci_u32_e64 v59, s1, v53, v59, s1
	v_add_co_u32 v64, s1, v52, v64
	v_fma_f64 v[70:71], v[70:71], -0.5, v[18:19]
	v_lshlrev_b64 v[60:61], 4, v[60:61]
	v_fma_f64 v[16:17], v[74:75], -0.5, v[16:17]
	v_add_f64 v[74:75], v[30:31], -v[48:49]
	v_fma_f64 v[20:21], v[78:79], -0.5, v[4:5]
	v_fma_f64 v[78:79], v[82:83], -0.5, v[0:1]
	;; [unrolled: 1-line block ×3, first 2 shown]
	v_add_f64 v[0:1], v[10:11], v[46:47]
	v_add_f64 v[4:5], v[8:9], v[14:15]
	;; [unrolled: 1-line block ×5, first 2 shown]
	v_fma_f64 v[48:49], v[84:85], s[4:5], v[66:67]
	v_fma_f64 v[14:15], v[84:85], s[2:3], v[66:67]
	v_add_co_ci_u32_e64 v65, s1, v53, v65, s1
	v_lshlrev_b64 v[66:67], 4, v[44:45]
	v_fma_f64 v[30:31], v[88:89], s[4:5], v[70:71]
	v_fma_f64 v[18:19], v[88:89], s[2:3], v[70:71]
	;; [unrolled: 1-line block ×10, first 2 shown]
	v_add_co_u32 v70, s1, v52, v80
	v_add_co_ci_u32_e64 v71, s1, v53, v81, s1
	v_add_co_u32 v60, s1, v52, v60
	v_add_co_ci_u32_e64 v61, s1, v53, v61, s1
	;; [unrolled: 2-line block ×3, first 2 shown]
	global_store_dwordx4 v[62:63], v[8:11], off
	global_store_dwordx4 v[54:55], v[24:27], off offset:448
	global_store_dwordx4 v[56:57], v[20:23], off offset:896
	global_store_dwordx4 v[68:69], v[4:7], off
	global_store_dwordx4 v[58:59], v[28:31], off
	;; [unrolled: 1-line block ×6, first 2 shown]
	s_and_b32 exec_lo, exec_lo, vcc_lo
	s_cbranch_execz .LBB0_44
; %bb.43:
	v_subrev_nc_u32_e32 v0, 54, v76
	v_mov_b32_e32 v51, v45
	v_cndmask_b32_e64 v0, v0, v77, s0
	v_lshlrev_b32_e32 v44, 1, v0
	v_lshlrev_b64 v[0:1], 4, v[44:45]
	v_add_nc_u32_e32 v44, 0x402, v76
	v_add_co_u32 v2, vcc_lo, s8, v0
	v_add_co_ci_u32_e32 v3, vcc_lo, s9, v1, vcc_lo
	v_add_co_u32 v0, vcc_lo, 0x2000, v2
	v_add_co_ci_u32_e32 v1, vcc_lo, 0, v3, vcc_lo
	;; [unrolled: 2-line block ×3, first 2 shown]
	s_clause 0x1
	global_load_dwordx4 v[0:3], v[0:1], off offset:288
	global_load_dwordx4 v[4:7], v[4:5], off offset:16
	s_waitcnt vmcnt(1)
	v_mul_f64 v[8:9], v[40:41], v[2:3]
	s_waitcnt vmcnt(0)
	v_mul_f64 v[10:11], v[42:43], v[6:7]
	v_mul_f64 v[2:3], v[34:35], v[2:3]
	;; [unrolled: 1-line block ×3, first 2 shown]
	v_fma_f64 v[8:9], v[34:35], v[0:1], v[8:9]
	v_fma_f64 v[10:11], v[36:37], v[4:5], v[10:11]
	v_fma_f64 v[0:1], v[40:41], v[0:1], -v[2:3]
	v_fma_f64 v[2:3], v[42:43], v[4:5], -v[6:7]
	v_add_f64 v[12:13], v[32:33], v[8:9]
	v_add_f64 v[4:5], v[8:9], v[10:11]
	;; [unrolled: 1-line block ×4, first 2 shown]
	v_add_f64 v[14:15], v[0:1], -v[2:3]
	v_add_f64 v[20:21], v[8:9], -v[10:11]
	v_add_f64 v[0:1], v[12:13], v[10:11]
	v_fma_f64 v[18:19], v[4:5], -0.5, v[32:33]
	v_add_f64 v[2:3], v[16:17], v[2:3]
	v_fma_f64 v[22:23], v[6:7], -0.5, v[38:39]
	v_lshlrev_b64 v[12:13], 4, v[50:51]
	v_add_co_u32 v12, vcc_lo, v52, v12
	v_add_co_ci_u32_e32 v13, vcc_lo, v53, v13, vcc_lo
	v_fma_f64 v[4:5], v[14:15], s[2:3], v[18:19]
	v_fma_f64 v[8:9], v[14:15], s[4:5], v[18:19]
	;; [unrolled: 1-line block ×4, first 2 shown]
	v_lshlrev_b64 v[14:15], 4, v[44:45]
	v_add_nc_u32_e32 v44, 0x61e, v76
	v_lshlrev_b64 v[16:17], 4, v[44:45]
	v_add_co_u32 v14, vcc_lo, v52, v14
	v_add_co_ci_u32_e32 v15, vcc_lo, v53, v15, vcc_lo
	v_add_co_u32 v16, vcc_lo, v52, v16
	v_add_co_ci_u32_e32 v17, vcc_lo, v53, v17, vcc_lo
	global_store_dwordx4 v[12:13], v[0:3], off
	global_store_dwordx4 v[14:15], v[4:7], off
	;; [unrolled: 1-line block ×3, first 2 shown]
.LBB0_44:
	s_endpgm
	.section	.rodata,"a",@progbits
	.p2align	6, 0x0
	.amdhsa_kernel fft_rtc_back_len1620_factors_10_3_3_6_3_wgs_162_tpt_162_halfLds_dp_op_CI_CI_unitstride_sbrr_dirReg
		.amdhsa_group_segment_fixed_size 0
		.amdhsa_private_segment_fixed_size 0
		.amdhsa_kernarg_size 104
		.amdhsa_user_sgpr_count 6
		.amdhsa_user_sgpr_private_segment_buffer 1
		.amdhsa_user_sgpr_dispatch_ptr 0
		.amdhsa_user_sgpr_queue_ptr 0
		.amdhsa_user_sgpr_kernarg_segment_ptr 1
		.amdhsa_user_sgpr_dispatch_id 0
		.amdhsa_user_sgpr_flat_scratch_init 0
		.amdhsa_user_sgpr_private_segment_size 0
		.amdhsa_wavefront_size32 1
		.amdhsa_uses_dynamic_stack 0
		.amdhsa_system_sgpr_private_segment_wavefront_offset 0
		.amdhsa_system_sgpr_workgroup_id_x 1
		.amdhsa_system_sgpr_workgroup_id_y 0
		.amdhsa_system_sgpr_workgroup_id_z 0
		.amdhsa_system_sgpr_workgroup_info 0
		.amdhsa_system_vgpr_workitem_id 0
		.amdhsa_next_free_vgpr 118
		.amdhsa_next_free_sgpr 27
		.amdhsa_reserve_vcc 1
		.amdhsa_reserve_flat_scratch 0
		.amdhsa_float_round_mode_32 0
		.amdhsa_float_round_mode_16_64 0
		.amdhsa_float_denorm_mode_32 3
		.amdhsa_float_denorm_mode_16_64 3
		.amdhsa_dx10_clamp 1
		.amdhsa_ieee_mode 1
		.amdhsa_fp16_overflow 0
		.amdhsa_workgroup_processor_mode 1
		.amdhsa_memory_ordered 1
		.amdhsa_forward_progress 0
		.amdhsa_shared_vgpr_count 0
		.amdhsa_exception_fp_ieee_invalid_op 0
		.amdhsa_exception_fp_denorm_src 0
		.amdhsa_exception_fp_ieee_div_zero 0
		.amdhsa_exception_fp_ieee_overflow 0
		.amdhsa_exception_fp_ieee_underflow 0
		.amdhsa_exception_fp_ieee_inexact 0
		.amdhsa_exception_int_div_zero 0
	.end_amdhsa_kernel
	.text
.Lfunc_end0:
	.size	fft_rtc_back_len1620_factors_10_3_3_6_3_wgs_162_tpt_162_halfLds_dp_op_CI_CI_unitstride_sbrr_dirReg, .Lfunc_end0-fft_rtc_back_len1620_factors_10_3_3_6_3_wgs_162_tpt_162_halfLds_dp_op_CI_CI_unitstride_sbrr_dirReg
                                        ; -- End function
	.section	.AMDGPU.csdata,"",@progbits
; Kernel info:
; codeLenInByte = 10072
; NumSgprs: 29
; NumVgprs: 118
; ScratchSize: 0
; MemoryBound: 1
; FloatMode: 240
; IeeeMode: 1
; LDSByteSize: 0 bytes/workgroup (compile time only)
; SGPRBlocks: 3
; VGPRBlocks: 14
; NumSGPRsForWavesPerEU: 29
; NumVGPRsForWavesPerEU: 118
; Occupancy: 8
; WaveLimiterHint : 1
; COMPUTE_PGM_RSRC2:SCRATCH_EN: 0
; COMPUTE_PGM_RSRC2:USER_SGPR: 6
; COMPUTE_PGM_RSRC2:TRAP_HANDLER: 0
; COMPUTE_PGM_RSRC2:TGID_X_EN: 1
; COMPUTE_PGM_RSRC2:TGID_Y_EN: 0
; COMPUTE_PGM_RSRC2:TGID_Z_EN: 0
; COMPUTE_PGM_RSRC2:TIDIG_COMP_CNT: 0
	.text
	.p2alignl 6, 3214868480
	.fill 48, 4, 3214868480
	.type	__hip_cuid_ee76810b1dccc90d,@object ; @__hip_cuid_ee76810b1dccc90d
	.section	.bss,"aw",@nobits
	.globl	__hip_cuid_ee76810b1dccc90d
__hip_cuid_ee76810b1dccc90d:
	.byte	0                               ; 0x0
	.size	__hip_cuid_ee76810b1dccc90d, 1

	.ident	"AMD clang version 19.0.0git (https://github.com/RadeonOpenCompute/llvm-project roc-6.4.0 25133 c7fe45cf4b819c5991fe208aaa96edf142730f1d)"
	.section	".note.GNU-stack","",@progbits
	.addrsig
	.addrsig_sym __hip_cuid_ee76810b1dccc90d
	.amdgpu_metadata
---
amdhsa.kernels:
  - .args:
      - .actual_access:  read_only
        .address_space:  global
        .offset:         0
        .size:           8
        .value_kind:     global_buffer
      - .offset:         8
        .size:           8
        .value_kind:     by_value
      - .actual_access:  read_only
        .address_space:  global
        .offset:         16
        .size:           8
        .value_kind:     global_buffer
      - .actual_access:  read_only
        .address_space:  global
        .offset:         24
        .size:           8
        .value_kind:     global_buffer
      - .actual_access:  read_only
        .address_space:  global
        .offset:         32
        .size:           8
        .value_kind:     global_buffer
      - .offset:         40
        .size:           8
        .value_kind:     by_value
      - .actual_access:  read_only
        .address_space:  global
        .offset:         48
        .size:           8
        .value_kind:     global_buffer
      - .actual_access:  read_only
        .address_space:  global
        .offset:         56
        .size:           8
        .value_kind:     global_buffer
      - .offset:         64
        .size:           4
        .value_kind:     by_value
      - .actual_access:  read_only
        .address_space:  global
        .offset:         72
        .size:           8
        .value_kind:     global_buffer
      - .actual_access:  read_only
        .address_space:  global
        .offset:         80
        .size:           8
        .value_kind:     global_buffer
      - .actual_access:  read_only
        .address_space:  global
        .offset:         88
        .size:           8
        .value_kind:     global_buffer
      - .actual_access:  write_only
        .address_space:  global
        .offset:         96
        .size:           8
        .value_kind:     global_buffer
    .group_segment_fixed_size: 0
    .kernarg_segment_align: 8
    .kernarg_segment_size: 104
    .language:       OpenCL C
    .language_version:
      - 2
      - 0
    .max_flat_workgroup_size: 162
    .name:           fft_rtc_back_len1620_factors_10_3_3_6_3_wgs_162_tpt_162_halfLds_dp_op_CI_CI_unitstride_sbrr_dirReg
    .private_segment_fixed_size: 0
    .sgpr_count:     29
    .sgpr_spill_count: 0
    .symbol:         fft_rtc_back_len1620_factors_10_3_3_6_3_wgs_162_tpt_162_halfLds_dp_op_CI_CI_unitstride_sbrr_dirReg.kd
    .uniform_work_group_size: 1
    .uses_dynamic_stack: false
    .vgpr_count:     118
    .vgpr_spill_count: 0
    .wavefront_size: 32
    .workgroup_processor_mode: 1
amdhsa.target:   amdgcn-amd-amdhsa--gfx1030
amdhsa.version:
  - 1
  - 2
...

	.end_amdgpu_metadata
